;; amdgpu-corpus repo=zjin-lcf/HeCBench kind=compiled arch=gfx906 opt=O3
	.amdgcn_target "amdgcn-amd-amdhsa--gfx906"
	.amdhsa_code_object_version 6
	.text
	.protected	_Z18hessian_matrix_detPKfiifPf ; -- Begin function _Z18hessian_matrix_detPKfiifPf
	.globl	_Z18hessian_matrix_detPKfiifPf
	.p2align	8
	.type	_Z18hessian_matrix_detPKfiifPf,@function
_Z18hessian_matrix_detPKfiifPf:         ; @_Z18hessian_matrix_detPKfiifPf
; %bb.0:
	s_load_dword s7, s[4:5], 0x2c
	s_load_dwordx4 s[0:3], s[4:5], 0x8
	s_waitcnt lgkmcnt(0)
	s_and_b32 s3, s7, 0xffff
	s_mul_i32 s6, s6, s3
	v_add_u32_e32 v0, s6, v0
	s_mul_i32 s3, s1, s0
	v_cmp_gt_i32_e32 vcc, s3, v0
	s_and_saveexec_b64 s[6:7], vcc
	s_cbranch_execz .LBB0_2
; %bb.1:
	s_abs_i32 s3, s1
	v_cvt_f32_u32_e32 v3, s3
	s_load_dwordx2 s[8:9], s[4:5], 0x0
	s_load_dwordx2 s[6:7], s[4:5], 0x18
	s_sub_i32 s4, 0, s3
	v_sub_u32_e32 v2, 0, v0
	v_rcp_iflag_f32_e32 v3, v3
	v_max_i32_e32 v2, v0, v2
	v_xor_b32_e32 v1, s1, v0
	v_ashrrev_i32_e32 v1, 31, v1
	v_mul_f32_e32 v3, 0x4f7ffffe, v3
	v_cvt_u32_f32_e32 v3, v3
	v_mul_lo_u32 v4, s4, v3
	v_mul_hi_u32 v4, v3, v4
	v_add_u32_e32 v3, v3, v4
	v_mul_hi_u32 v3, v2, v3
	v_mul_lo_u32 v4, v3, s3
	v_sub_u32_e32 v2, v2, v4
	v_cmp_le_u32_e32 vcc, s3, v2
	v_add_u32_e32 v4, 1, v3
	v_cndmask_b32_e32 v3, v3, v4, vcc
	v_subrev_u32_e32 v4, s3, v2
	v_cndmask_b32_e32 v2, v2, v4, vcc
	v_cmp_le_u32_e32 vcc, s3, v2
	v_add_u32_e32 v2, 1, v3
	v_cndmask_b32_e32 v2, v3, v2, vcc
	v_mov_b32_e32 v3, 0x40400000
	v_mul_f32_e32 v3, s2, v3
	v_cvt_i32_f32_e32 v5, v3
	v_xor_b32_e32 v2, v2, v1
	v_sub_u32_e32 v1, v2, v1
	v_mul_lo_u32 v2, v1, s1
	v_mul_lo_u32 v3, v5, v5
	v_readfirstlane_b32 s3, v5
	s_add_i32 s2, s3, -1
	s_lshr_b32 s4, s2, 31
	v_cvt_f32_u32_e32 v3, v3
	s_mul_hi_i32 s3, s3, 0x55555556
	s_add_i32 s2, s2, s4
	s_lshr_b32 s4, s3, 31
	s_add_i32 s3, s3, s4
	v_div_scale_f32 v4, s[4:5], v3, v3, 1.0
	v_subrev_u32_e32 v11, s3, v1
	s_add_i32 s4, s0, -1
	v_sub_u32_e32 v2, v0, v2
	s_ashr_i32 s2, s2, 1
	s_add_i32 s2, s2, 1
	v_rcp_f32_e32 v6, v4
	v_fma_f32 v7, -v4, v6, 1.0
	v_fmac_f32_e32 v6, v7, v6
	v_div_scale_f32 v7, vcc, 1.0, v3, 1.0
	v_mul_f32_e32 v8, v7, v6
	v_fma_f32 v9, -v4, v8, v7
	v_fmac_f32_e32 v8, v9, v6
	v_fma_f32 v4, -v4, v8, v7
	v_div_fmas_f32 v4, v4, v6, v8
	v_cmp_gt_i32_e32 vcc, s0, v11
	v_max_i32_e32 v7, 0, v11
	v_subrev_u32_e32 v6, s3, v2
	v_add_u32_e32 v11, 1, v11
	v_div_fixup_f32 v3, v4, v3, 1.0
	v_mov_b32_e32 v4, s4
	v_cndmask_b32_e32 v7, v4, v7, vcc
	v_mul_lo_u32 v9, v7, s1
	s_add_i32 s4, s1, -1
	v_cmp_gt_i32_e32 vcc, s1, v6
	v_max_i32_e32 v6, 0, v6
	v_mov_b32_e32 v10, s4
	v_cndmask_b32_e32 v12, v10, v6, vcc
	v_add_u32_e32 v6, s3, v7
	v_add_u32_e32 v13, v9, v12
	v_cmp_gt_i32_e32 vcc, s0, v6
	v_max_i32_e32 v6, 0, v6
	v_ashrrev_i32_e32 v14, 31, v13
	v_cndmask_b32_e32 v15, v4, v6, vcc
	v_add_u32_e32 v6, s3, v12
	v_lshlrev_b64 v[13:14], 2, v[13:14]
	v_cmp_gt_i32_e32 vcc, s1, v6
	v_max_i32_e32 v6, 0, v6
	v_cndmask_b32_e32 v8, v10, v6, vcc
	s_waitcnt lgkmcnt(0)
	v_add_co_u32_e32 v13, vcc, s8, v13
	v_mov_b32_e32 v6, s9
	v_addc_co_u32_e32 v14, vcc, v6, v14, vcc
	global_load_dword v13, v[13:14], off
	v_mul_lo_u32 v14, v15, s1
	s_lshl_b32 s4, s3, 1
	v_add_u32_e32 v15, v14, v8
	v_ashrrev_i32_e32 v16, 31, v15
	v_lshlrev_b64 v[15:16], 2, v[15:16]
	v_add_co_u32_e32 v15, vcc, s8, v15
	v_addc_co_u32_e32 v16, vcc, v6, v16, vcc
	global_load_dword v15, v[15:16], off
	s_waitcnt vmcnt(0)
	v_add_f32_e32 v13, v13, v15
	v_add_u32_e32 v15, v8, v9
	v_ashrrev_i32_e32 v16, 31, v15
	v_lshlrev_b64 v[15:16], 2, v[15:16]
	v_add_co_u32_e32 v15, vcc, s8, v15
	v_addc_co_u32_e32 v16, vcc, v6, v16, vcc
	global_load_dword v15, v[15:16], off
	s_waitcnt vmcnt(0)
	v_sub_f32_e32 v13, v13, v15
	v_add_u32_e32 v15, v14, v12
	v_ashrrev_i32_e32 v16, 31, v15
	v_lshlrev_b64 v[15:16], 2, v[15:16]
	v_add_co_u32_e32 v15, vcc, s8, v15
	v_addc_co_u32_e32 v16, vcc, v6, v16, vcc
	global_load_dword v15, v[15:16], off
	v_add_u32_e32 v16, 1, v2
	s_waitcnt vmcnt(0)
	v_sub_f32_e32 v13, v13, v15
	v_add_u32_e32 v15, 1, v1
	v_cmp_gt_i32_e32 vcc, s0, v15
	v_max_i32_e32 v15, 0, v15
	v_cndmask_b32_e32 v15, v4, v15, vcc
	v_cmp_gt_i32_e32 vcc, s1, v16
	v_max_i32_e32 v16, 0, v16
	v_cndmask_b32_e32 v17, v10, v16, vcc
	v_add_u32_e32 v16, s3, v15
	v_mul_lo_u32 v15, v15, s1
	v_cmp_gt_i32_e32 vcc, s0, v16
	v_max_i32_e32 v16, 0, v16
	v_cndmask_b32_e32 v16, v4, v16, vcc
	v_add_u32_e32 v19, v15, v17
	v_ashrrev_i32_e32 v20, 31, v19
	v_add_u32_e32 v18, s3, v17
	v_lshlrev_b64 v[19:20], 2, v[19:20]
	v_mul_lo_u32 v16, v16, s1
	v_cmp_gt_i32_e32 vcc, s1, v18
	v_max_i32_e32 v18, 0, v18
	v_cndmask_b32_e32 v18, v10, v18, vcc
	v_add_co_u32_e32 v19, vcc, s8, v19
	v_addc_co_u32_e32 v20, vcc, v6, v20, vcc
	global_load_dword v21, v[19:20], off
	v_add_u32_e32 v19, v16, v18
	v_ashrrev_i32_e32 v20, 31, v19
	v_lshlrev_b64 v[19:20], 2, v[19:20]
	v_max_f32_e32 v13, 0, v13
	v_add_co_u32_e32 v19, vcc, s8, v19
	v_addc_co_u32_e32 v20, vcc, v6, v20, vcc
	global_load_dword v19, v[19:20], off
	s_waitcnt vmcnt(0)
	v_add_f32_e32 v21, v21, v19
	v_add_u32_e32 v19, v18, v15
	v_ashrrev_i32_e32 v20, 31, v19
	v_lshlrev_b64 v[19:20], 2, v[19:20]
	v_add_co_u32_e32 v19, vcc, s8, v19
	v_addc_co_u32_e32 v20, vcc, v6, v20, vcc
	global_load_dword v19, v[19:20], off
	s_waitcnt vmcnt(0)
	v_sub_f32_e32 v21, v21, v19
	v_add_u32_e32 v19, v16, v17
	v_ashrrev_i32_e32 v20, 31, v19
	v_lshlrev_b64 v[19:20], 2, v[19:20]
	v_add_co_u32_e32 v19, vcc, s8, v19
	v_addc_co_u32_e32 v20, vcc, v6, v20, vcc
	global_load_dword v19, v[19:20], off
	v_add_u32_e32 v20, v9, v17
	v_add_u32_e32 v17, v14, v17
	s_waitcnt vmcnt(0)
	v_sub_f32_e32 v19, v21, v19
	v_ashrrev_i32_e32 v21, 31, v20
	v_lshlrev_b64 v[20:21], 2, v[20:21]
	v_max_f32_e32 v19, 0, v19
	v_add_co_u32_e32 v20, vcc, s8, v20
	v_addc_co_u32_e32 v21, vcc, v6, v21, vcc
	global_load_dword v22, v[20:21], off
	v_add_u32_e32 v20, v14, v18
	v_ashrrev_i32_e32 v21, 31, v20
	v_lshlrev_b64 v[20:21], 2, v[20:21]
	v_add_co_u32_e32 v20, vcc, s8, v20
	v_addc_co_u32_e32 v21, vcc, v6, v21, vcc
	global_load_dword v20, v[20:21], off
	s_waitcnt vmcnt(0)
	v_add_f32_e32 v22, v22, v20
	v_add_u32_e32 v20, v18, v9
	v_ashrrev_i32_e32 v21, 31, v20
	v_lshlrev_b64 v[20:21], 2, v[20:21]
	v_add_co_u32_e32 v20, vcc, s8, v20
	v_addc_co_u32_e32 v21, vcc, v6, v21, vcc
	global_load_dword v18, v[20:21], off
	s_waitcnt vmcnt(0)
	v_sub_f32_e32 v20, v22, v18
	v_ashrrev_i32_e32 v18, 31, v17
	v_lshlrev_b64 v[17:18], 2, v[17:18]
	v_add_co_u32_e32 v17, vcc, s8, v17
	v_addc_co_u32_e32 v18, vcc, v6, v18, vcc
	global_load_dword v14, v[17:18], off
	v_add_u32_e32 v17, v15, v12
	v_ashrrev_i32_e32 v18, 31, v17
	v_lshlrev_b64 v[17:18], 2, v[17:18]
	v_add_co_u32_e32 v17, vcc, s8, v17
	v_addc_co_u32_e32 v18, vcc, v6, v18, vcc
	s_waitcnt vmcnt(0)
	v_sub_f32_e32 v14, v20, v14
	v_max_f32_e32 v20, 0, v14
	global_load_dword v14, v[17:18], off
	v_add_u32_e32 v17, v16, v8
	v_ashrrev_i32_e32 v18, 31, v17
	v_lshlrev_b64 v[17:18], 2, v[17:18]
	v_add_co_u32_e32 v17, vcc, s8, v17
	v_addc_co_u32_e32 v18, vcc, v6, v18, vcc
	global_load_dword v17, v[17:18], off
	s_waitcnt vmcnt(0)
	v_add_f32_e32 v17, v14, v17
	v_add_u32_e32 v14, v8, v15
	v_ashrrev_i32_e32 v15, 31, v14
	v_lshlrev_b64 v[14:15], 2, v[14:15]
	v_add_co_u32_e32 v14, vcc, s8, v14
	v_addc_co_u32_e32 v15, vcc, v6, v15, vcc
	global_load_dword v8, v[14:15], off
	v_add_u32_e32 v14, v16, v12
	v_ashrrev_i32_e32 v15, 31, v14
	v_lshlrev_b64 v[14:15], 2, v[14:15]
	v_add_co_u32_e32 v14, vcc, s8, v14
	v_addc_co_u32_e32 v15, vcc, v6, v15, vcc
	global_load_dword v14, v[14:15], off
	v_cmp_gt_i32_e32 vcc, s0, v11
	v_max_i32_e32 v11, 0, v11
	v_cndmask_b32_e32 v11, v4, v11, vcc
	s_waitcnt vmcnt(1)
	v_sub_f32_e32 v8, v17, v8
	s_waitcnt vmcnt(0)
	v_sub_f32_e32 v8, v8, v14
	v_max_f32_e32 v8, 0, v8
	v_add_f32_e32 v8, v20, v8
	v_sub_f32_e32 v8, v8, v13
	v_add3_u32 v13, s4, -1, v11
	v_mul_lo_u32 v11, v11, s1
	v_cmp_gt_i32_e32 vcc, s0, v13
	v_max_i32_e32 v13, 0, v13
	v_cndmask_b32_e32 v15, v4, v13, vcc
	v_add_u32_e32 v13, v12, v5
	v_cmp_gt_i32_e32 vcc, s1, v13
	v_max_i32_e32 v13, 0, v13
	v_cndmask_b32_e32 v16, v10, v13, vcc
	v_add_u32_e32 v13, v11, v12
	v_ashrrev_i32_e32 v14, 31, v13
	v_lshlrev_b64 v[13:14], 2, v[13:14]
	s_mov_b32 s4, 0xd5555555
	v_add_co_u32_e32 v13, vcc, s8, v13
	v_addc_co_u32_e32 v14, vcc, v6, v14, vcc
	global_load_dword v17, v[13:14], off
	v_mul_lo_u32 v13, v15, s1
	v_sub_f32_e32 v8, v8, v19
	v_mul_f32_e64 v8, v3, -v8
	v_add_u32_e32 v14, v13, v16
	v_ashrrev_i32_e32 v15, 31, v14
	v_lshlrev_b64 v[14:15], 2, v[14:15]
	v_add_co_u32_e32 v14, vcc, s8, v14
	v_addc_co_u32_e32 v15, vcc, v6, v15, vcc
	global_load_dword v14, v[14:15], off
	s_waitcnt vmcnt(0)
	v_add_f32_e32 v17, v17, v14
	v_add_u32_e32 v14, v16, v11
	v_ashrrev_i32_e32 v15, 31, v14
	v_lshlrev_b64 v[14:15], 2, v[14:15]
	v_add_co_u32_e32 v14, vcc, s8, v14
	v_addc_co_u32_e32 v15, vcc, v6, v15, vcc
	global_load_dword v14, v[14:15], off
	s_waitcnt vmcnt(0)
	v_sub_f32_e32 v16, v17, v14
	v_add_u32_e32 v14, v13, v12
	v_ashrrev_i32_e32 v15, 31, v14
	v_lshlrev_b64 v[14:15], 2, v[14:15]
	v_add_co_u32_e32 v14, vcc, s8, v14
	v_addc_co_u32_e32 v15, vcc, v6, v15, vcc
	global_load_dword v12, v[14:15], off
	s_waitcnt vmcnt(0)
	v_sub_f32_e32 v12, v16, v12
	v_max_f32_e32 v16, 0, v12
	v_mul_hi_i32 v12, v5, s4
	v_add_u32_e32 v5, v7, v5
	v_lshrrev_b32_e32 v14, 31, v12
	v_add_u32_e32 v12, v12, v14
	v_add_u32_e32 v12, v2, v12
	v_cmp_gt_i32_e32 vcc, s1, v12
	v_max_i32_e32 v12, 0, v12
	v_cndmask_b32_e32 v17, v10, v12, vcc
	v_add_u32_e32 v14, v11, v17
	v_ashrrev_i32_e32 v15, 31, v14
	v_add_u32_e32 v12, s3, v17
	v_lshlrev_b64 v[14:15], 2, v[14:15]
	v_cmp_gt_i32_e32 vcc, s1, v12
	v_max_i32_e32 v12, 0, v12
	v_cndmask_b32_e32 v12, v10, v12, vcc
	v_add_co_u32_e32 v14, vcc, s8, v14
	v_addc_co_u32_e32 v15, vcc, v6, v15, vcc
	global_load_dword v18, v[14:15], off
	v_add_u32_e32 v14, v13, v12
	v_ashrrev_i32_e32 v15, 31, v14
	v_lshlrev_b64 v[14:15], 2, v[14:15]
	v_add_u32_e32 v11, v12, v11
	v_ashrrev_i32_e32 v12, 31, v11
	v_add_co_u32_e32 v14, vcc, s8, v14
	v_lshlrev_b64 v[11:12], 2, v[11:12]
	v_addc_co_u32_e32 v15, vcc, v6, v15, vcc
	v_add_co_u32_e32 v11, vcc, s8, v11
	global_load_dword v14, v[14:15], off
	v_addc_co_u32_e32 v12, vcc, v6, v12, vcc
	global_load_dword v11, v[11:12], off
	v_subrev_u32_e32 v2, s2, v2
	v_add_u32_e32 v2, 1, v2
	s_lshl_b32 s3, s2, 1
	s_waitcnt vmcnt(1)
	v_add_f32_e32 v14, v18, v14
	s_waitcnt vmcnt(0)
	v_sub_f32_e32 v14, v14, v11
	v_add_u32_e32 v11, v13, v17
	v_ashrrev_i32_e32 v12, 31, v11
	v_lshlrev_b64 v[11:12], 2, v[11:12]
	v_add_co_u32_e32 v11, vcc, s8, v11
	v_addc_co_u32_e32 v12, vcc, v6, v12, vcc
	v_cmp_gt_i32_e32 vcc, s1, v2
	v_max_i32_e32 v2, 0, v2
	v_cndmask_b32_e32 v2, v10, v2, vcc
	global_load_dword v11, v[11:12], off
	v_cmp_gt_i32_e32 vcc, s0, v5
	v_max_i32_e32 v5, 0, v5
	v_add_u32_e32 v12, v2, v9
	v_cndmask_b32_e32 v5, v4, v5, vcc
	v_ashrrev_i32_e32 v13, 31, v12
	v_add3_u32 v7, s3, -1, v2
	v_lshlrev_b64 v[12:13], 2, v[12:13]
	v_mul_lo_u32 v5, v5, s1
	v_cmp_gt_i32_e32 vcc, s1, v7
	v_max_i32_e32 v7, 0, v7
	v_cndmask_b32_e32 v7, v10, v7, vcc
	v_add_co_u32_e32 v12, vcc, s8, v12
	v_addc_co_u32_e32 v13, vcc, v6, v13, vcc
	global_load_dword v10, v[12:13], off
	v_add_u32_e32 v12, v7, v5
	v_ashrrev_i32_e32 v13, 31, v12
	v_lshlrev_b64 v[12:13], 2, v[12:13]
	v_add_u32_e32 v9, v7, v9
	v_add_co_u32_e32 v12, vcc, s8, v12
	v_addc_co_u32_e32 v13, vcc, v6, v13, vcc
	global_load_dword v12, v[12:13], off
	s_lshr_b32 s3, s2, 31
	s_add_i32 s3, s2, s3
	s_ashr_i32 s3, s3, 1
	v_subrev_u32_e32 v1, s3, v1
	s_waitcnt vmcnt(2)
	v_sub_f32_e32 v11, v14, v11
	v_max_f32_e32 v11, 0, v11
	v_fmac_f32_e32 v16, 0xc0400000, v11
	v_mul_f32_e32 v11, v3, v16
	s_waitcnt vmcnt(0)
	v_add_f32_e32 v12, v10, v12
	v_ashrrev_i32_e32 v10, 31, v9
	v_lshlrev_b64 v[9:10], 2, v[9:10]
	v_add_co_u32_e32 v9, vcc, s8, v9
	v_addc_co_u32_e32 v10, vcc, v6, v10, vcc
	global_load_dword v9, v[9:10], off
	s_waitcnt vmcnt(0)
	v_sub_f32_e32 v12, v12, v9
	v_add_u32_e32 v9, v5, v2
	v_ashrrev_i32_e32 v10, 31, v9
	v_lshlrev_b64 v[9:10], 2, v[9:10]
	v_add_co_u32_e32 v9, vcc, s8, v9
	v_addc_co_u32_e32 v10, vcc, v6, v10, vcc
	global_load_dword v5, v[9:10], off
	v_cmp_gt_i32_e32 vcc, s0, v1
	v_max_i32_e32 v1, 0, v1
	v_cndmask_b32_e32 v1, v4, v1, vcc
	v_add_u32_e32 v9, s2, v1
	v_mul_lo_u32 v1, v1, s1
	v_cmp_gt_i32_e32 vcc, s0, v9
	v_max_i32_e32 v9, 0, v9
	v_cndmask_b32_e32 v4, v4, v9, vcc
	v_add_u32_e32 v9, v2, v1
	v_ashrrev_i32_e32 v10, 31, v9
	v_lshlrev_b64 v[9:10], 2, v[9:10]
	v_mul_lo_u32 v13, v4, s1
	v_add_co_u32_e32 v9, vcc, s8, v9
	v_addc_co_u32_e32 v10, vcc, v6, v10, vcc
	s_waitcnt vmcnt(0)
	v_sub_f32_e32 v5, v12, v5
	global_load_dword v12, v[9:10], off
	v_add_u32_e32 v9, v7, v13
	v_ashrrev_i32_e32 v10, 31, v9
	v_lshlrev_b64 v[9:10], 2, v[9:10]
	v_max_f32_e32 v5, 0, v5
	v_add_co_u32_e32 v9, vcc, s8, v9
	v_addc_co_u32_e32 v10, vcc, v6, v10, vcc
	global_load_dword v4, v[9:10], off
	v_add_u32_e32 v9, v7, v1
	v_ashrrev_i32_e32 v10, 31, v9
	v_lshlrev_b64 v[9:10], 2, v[9:10]
	v_add_co_u32_e32 v9, vcc, s8, v9
	v_addc_co_u32_e32 v10, vcc, v6, v10, vcc
	global_load_dword v1, v[9:10], off
	s_waitcnt vmcnt(1)
	v_add_f32_e32 v4, v12, v4
	s_waitcnt vmcnt(0)
	v_sub_f32_e32 v4, v4, v1
	v_add_u32_e32 v1, v13, v2
	v_ashrrev_i32_e32 v2, 31, v1
	v_lshlrev_b64 v[1:2], 2, v[1:2]
	v_add_co_u32_e32 v1, vcc, s8, v1
	v_addc_co_u32_e32 v2, vcc, v6, v2, vcc
	global_load_dword v1, v[1:2], off
	s_waitcnt vmcnt(0)
	v_sub_f32_e32 v1, v4, v1
	v_max_f32_e32 v1, 0, v1
	v_fmac_f32_e32 v5, 0xc0400000, v1
	v_mul_f32_e32 v1, v3, v5
	v_mul_f32_e32 v2, v11, v1
	;; [unrolled: 1-line block ×3, first 2 shown]
	v_fmac_f32_e32 v2, 0xbf4f5c29, v1
	v_ashrrev_i32_e32 v1, 31, v0
	v_lshlrev_b64 v[0:1], 2, v[0:1]
	v_mov_b32_e32 v3, s7
	v_add_co_u32_e32 v0, vcc, s6, v0
	v_addc_co_u32_e32 v1, vcc, v3, v1, vcc
	global_store_dword v[0:1], v2, off
.LBB0_2:
	s_endpgm
	.section	.rodata,"a",@progbits
	.p2align	6, 0x0
	.amdhsa_kernel _Z18hessian_matrix_detPKfiifPf
		.amdhsa_group_segment_fixed_size 0
		.amdhsa_private_segment_fixed_size 0
		.amdhsa_kernarg_size 288
		.amdhsa_user_sgpr_count 6
		.amdhsa_user_sgpr_private_segment_buffer 1
		.amdhsa_user_sgpr_dispatch_ptr 0
		.amdhsa_user_sgpr_queue_ptr 0
		.amdhsa_user_sgpr_kernarg_segment_ptr 1
		.amdhsa_user_sgpr_dispatch_id 0
		.amdhsa_user_sgpr_flat_scratch_init 0
		.amdhsa_user_sgpr_private_segment_size 0
		.amdhsa_uses_dynamic_stack 0
		.amdhsa_system_sgpr_private_segment_wavefront_offset 0
		.amdhsa_system_sgpr_workgroup_id_x 1
		.amdhsa_system_sgpr_workgroup_id_y 0
		.amdhsa_system_sgpr_workgroup_id_z 0
		.amdhsa_system_sgpr_workgroup_info 0
		.amdhsa_system_vgpr_workitem_id 0
		.amdhsa_next_free_vgpr 23
		.amdhsa_next_free_sgpr 10
		.amdhsa_reserve_vcc 1
		.amdhsa_reserve_flat_scratch 0
		.amdhsa_float_round_mode_32 0
		.amdhsa_float_round_mode_16_64 0
		.amdhsa_float_denorm_mode_32 3
		.amdhsa_float_denorm_mode_16_64 3
		.amdhsa_dx10_clamp 1
		.amdhsa_ieee_mode 1
		.amdhsa_fp16_overflow 0
		.amdhsa_exception_fp_ieee_invalid_op 0
		.amdhsa_exception_fp_denorm_src 0
		.amdhsa_exception_fp_ieee_div_zero 0
		.amdhsa_exception_fp_ieee_overflow 0
		.amdhsa_exception_fp_ieee_underflow 0
		.amdhsa_exception_fp_ieee_inexact 0
		.amdhsa_exception_int_div_zero 0
	.end_amdhsa_kernel
	.text
.Lfunc_end0:
	.size	_Z18hessian_matrix_detPKfiifPf, .Lfunc_end0-_Z18hessian_matrix_detPKfiifPf
                                        ; -- End function
	.set _Z18hessian_matrix_detPKfiifPf.num_vgpr, 23
	.set _Z18hessian_matrix_detPKfiifPf.num_agpr, 0
	.set _Z18hessian_matrix_detPKfiifPf.numbered_sgpr, 10
	.set _Z18hessian_matrix_detPKfiifPf.num_named_barrier, 0
	.set _Z18hessian_matrix_detPKfiifPf.private_seg_size, 0
	.set _Z18hessian_matrix_detPKfiifPf.uses_vcc, 1
	.set _Z18hessian_matrix_detPKfiifPf.uses_flat_scratch, 0
	.set _Z18hessian_matrix_detPKfiifPf.has_dyn_sized_stack, 0
	.set _Z18hessian_matrix_detPKfiifPf.has_recursion, 0
	.set _Z18hessian_matrix_detPKfiifPf.has_indirect_call, 0
	.section	.AMDGPU.csdata,"",@progbits
; Kernel info:
; codeLenInByte = 2128
; TotalNumSgprs: 14
; NumVgprs: 23
; ScratchSize: 0
; MemoryBound: 0
; FloatMode: 240
; IeeeMode: 1
; LDSByteSize: 0 bytes/workgroup (compile time only)
; SGPRBlocks: 1
; VGPRBlocks: 5
; NumSGPRsForWavesPerEU: 14
; NumVGPRsForWavesPerEU: 23
; Occupancy: 10
; WaveLimiterHint : 0
; COMPUTE_PGM_RSRC2:SCRATCH_EN: 0
; COMPUTE_PGM_RSRC2:USER_SGPR: 6
; COMPUTE_PGM_RSRC2:TRAP_HANDLER: 0
; COMPUTE_PGM_RSRC2:TGID_X_EN: 1
; COMPUTE_PGM_RSRC2:TGID_Y_EN: 0
; COMPUTE_PGM_RSRC2:TGID_Z_EN: 0
; COMPUTE_PGM_RSRC2:TIDIG_COMP_CNT: 0
	.section	.AMDGPU.gpr_maximums,"",@progbits
	.set amdgpu.max_num_vgpr, 0
	.set amdgpu.max_num_agpr, 0
	.set amdgpu.max_num_sgpr, 0
	.section	.AMDGPU.csdata,"",@progbits
	.type	__hip_cuid_c5bdf1ae0f7ff73,@object ; @__hip_cuid_c5bdf1ae0f7ff73
	.section	.bss,"aw",@nobits
	.globl	__hip_cuid_c5bdf1ae0f7ff73
__hip_cuid_c5bdf1ae0f7ff73:
	.byte	0                               ; 0x0
	.size	__hip_cuid_c5bdf1ae0f7ff73, 1

	.ident	"AMD clang version 22.0.0git (https://github.com/RadeonOpenCompute/llvm-project roc-7.2.4 26084 f58b06dce1f9c15707c5f808fd002e18c2accf7e)"
	.section	".note.GNU-stack","",@progbits
	.addrsig
	.addrsig_sym __hip_cuid_c5bdf1ae0f7ff73
	.amdgpu_metadata
---
amdhsa.kernels:
  - .args:
      - .address_space:  global
        .offset:         0
        .size:           8
        .value_kind:     global_buffer
      - .offset:         8
        .size:           4
        .value_kind:     by_value
      - .offset:         12
        .size:           4
        .value_kind:     by_value
      - .offset:         16
        .size:           4
        .value_kind:     by_value
      - .address_space:  global
        .offset:         24
        .size:           8
        .value_kind:     global_buffer
      - .offset:         32
        .size:           4
        .value_kind:     hidden_block_count_x
      - .offset:         36
        .size:           4
        .value_kind:     hidden_block_count_y
      - .offset:         40
        .size:           4
        .value_kind:     hidden_block_count_z
      - .offset:         44
        .size:           2
        .value_kind:     hidden_group_size_x
      - .offset:         46
        .size:           2
        .value_kind:     hidden_group_size_y
      - .offset:         48
        .size:           2
        .value_kind:     hidden_group_size_z
      - .offset:         50
        .size:           2
        .value_kind:     hidden_remainder_x
      - .offset:         52
        .size:           2
        .value_kind:     hidden_remainder_y
      - .offset:         54
        .size:           2
        .value_kind:     hidden_remainder_z
      - .offset:         72
        .size:           8
        .value_kind:     hidden_global_offset_x
      - .offset:         80
        .size:           8
        .value_kind:     hidden_global_offset_y
      - .offset:         88
        .size:           8
        .value_kind:     hidden_global_offset_z
      - .offset:         96
        .size:           2
        .value_kind:     hidden_grid_dims
    .group_segment_fixed_size: 0
    .kernarg_segment_align: 8
    .kernarg_segment_size: 288
    .language:       OpenCL C
    .language_version:
      - 2
      - 0
    .max_flat_workgroup_size: 1024
    .name:           _Z18hessian_matrix_detPKfiifPf
    .private_segment_fixed_size: 0
    .sgpr_count:     14
    .sgpr_spill_count: 0
    .symbol:         _Z18hessian_matrix_detPKfiifPf.kd
    .uniform_work_group_size: 1
    .uses_dynamic_stack: false
    .vgpr_count:     23
    .vgpr_spill_count: 0
    .wavefront_size: 64
amdhsa.target:   amdgcn-amd-amdhsa--gfx906
amdhsa.version:
  - 1
  - 2
...

	.end_amdgpu_metadata
